;; amdgpu-corpus repo=ggml-org/llama.cpp kind=compiled arch=gfx950 opt=O3
	.amdgcn_target "amdgcn-amd-amdhsa--gfx950"
	.amdhsa_code_object_version 6
	.section	.text._Z16conv2d_dw_kernelIf11whcn_layoutEvPKT_S3_PS1_iiiiiiiiiiiiii,"axG",@progbits,_Z16conv2d_dw_kernelIf11whcn_layoutEvPKT_S3_PS1_iiiiiiiiiiiiii,comdat
	.protected	_Z16conv2d_dw_kernelIf11whcn_layoutEvPKT_S3_PS1_iiiiiiiiiiiiii ; -- Begin function _Z16conv2d_dw_kernelIf11whcn_layoutEvPKT_S3_PS1_iiiiiiiiiiiiii
	.globl	_Z16conv2d_dw_kernelIf11whcn_layoutEvPKT_S3_PS1_iiiiiiiiiiiiii
	.p2align	8
	.type	_Z16conv2d_dw_kernelIf11whcn_layoutEvPKT_S3_PS1_iiiiiiiiiiiiii,@function
_Z16conv2d_dw_kernelIf11whcn_layoutEvPKT_S3_PS1_iiiiiiiiiiiiii: ; @_Z16conv2d_dw_kernelIf11whcn_layoutEvPKT_S3_PS1_iiiiiiiiiiiiii
; %bb.0:
	s_load_dword s3, s[0:1], 0x5c
	s_load_dwordx8 s[4:11], s[0:1], 0x18
	s_load_dwordx2 s[20:21], s[0:1], 0x48
	s_waitcnt lgkmcnt(0)
	s_and_b32 s3, s3, 0xffff
	s_mul_i32 s2, s2, s3
	s_mul_i32 s3, s7, s6
	v_add_u32_e32 v1, s2, v0
	s_mul_i32 s2, s3, s20
	s_mul_i32 s12, s2, s21
	v_cmp_gt_i32_e32 vcc, s12, v1
	s_and_saveexec_b64 s[12:13], vcc
	s_cbranch_execz .LBB0_12
; %bb.1:
	s_abs_i32 s16, s6
	v_cvt_f32_u32_e32 v0, s16
	v_ashrrev_i32_e32 v2, 31, v1
	s_ashr_i32 s17, s6, 31
	v_sub_u32_e32 v3, 0, v1
	v_rcp_iflag_f32_e32 v0, v0
	v_xor_b32_e32 v4, s17, v2
	s_sub_i32 s17, 0, s16
	v_max_i32_e32 v5, v1, v3
	v_mul_f32_e32 v0, 0x4f7ffffe, v0
	v_cvt_u32_f32_e32 v0, v0
	s_load_dwordx4 s[12:15], s[0:1], 0x38
	v_mul_lo_u32 v3, s17, v0
	v_mul_hi_u32 v3, v0, v3
	v_add_u32_e32 v0, v0, v3
	v_mul_hi_u32 v0, v5, v0
	v_mul_lo_u32 v3, v0, s16
	v_sub_u32_e32 v3, v5, v3
	s_abs_i32 s17, s7
	v_add_u32_e32 v6, 1, v0
	v_cmp_le_u32_e32 vcc, s16, v3
	v_cvt_f32_u32_e32 v7, s17
	s_nop 0
	v_cndmask_b32_e32 v0, v0, v6, vcc
	v_subrev_u32_e32 v6, s16, v3
	v_cndmask_b32_e32 v3, v3, v6, vcc
	v_add_u32_e32 v6, 1, v0
	v_cmp_le_u32_e32 vcc, s16, v3
	s_sub_i32 s16, 0, s17
	s_nop 0
	v_cndmask_b32_e32 v0, v0, v6, vcc
	v_rcp_iflag_f32_e32 v6, v7
	v_xor_b32_e32 v0, v0, v4
	v_sub_u32_e32 v0, v0, v4
	v_sub_u32_e32 v7, 0, v0
	v_mul_f32_e32 v6, 0x4f7ffffe, v6
	v_cvt_u32_f32_e32 v6, v6
	v_mul_lo_u32 v3, v0, s6
	v_ashrrev_i32_e32 v4, 31, v0
	v_max_i32_e32 v0, v0, v7
	v_mul_lo_u32 v7, s16, v6
	v_mul_hi_u32 v7, v6, v7
	v_add_u32_e32 v6, v6, v7
	s_abs_i32 s16, s3
	v_mul_hi_u32 v6, v0, v6
	v_cvt_f32_u32_e32 v7, s16
	v_mul_lo_u32 v6, v6, s17
	v_sub_u32_e32 v0, v0, v6
	v_subrev_u32_e32 v6, s17, v0
	v_cmp_le_u32_e32 vcc, s17, v0
	v_rcp_iflag_f32_e32 v7, v7
	s_ashr_i32 s3, s3, 31
	v_cndmask_b32_e32 v0, v0, v6, vcc
	v_subrev_u32_e32 v6, s17, v0
	v_cmp_le_u32_e32 vcc, s17, v0
	s_nop 1
	v_cndmask_b32_e32 v0, v0, v6, vcc
	v_xor_b32_e32 v0, v0, v4
	v_sub_u32_e32 v0, v0, v4
	v_mul_f32_e32 v4, 0x4f7ffffe, v7
	v_cvt_u32_f32_e32 v4, v4
	v_xor_b32_e32 v6, s3, v2
	s_sub_i32 s3, 0, s16
	v_mul_lo_u32 v11, v0, s11
	v_mul_lo_u32 v7, s3, v4
	v_mul_hi_u32 v7, v4, v7
	v_add_u32_e32 v4, v4, v7
	v_mul_hi_u32 v4, v5, v4
	v_mul_lo_u32 v7, v4, s16
	v_sub_u32_e32 v7, v5, v7
	v_add_u32_e32 v8, 1, v4
	v_cmp_le_u32_e32 vcc, s16, v7
	s_abs_i32 s3, s20
	s_nop 0
	v_cndmask_b32_e32 v4, v4, v8, vcc
	v_subrev_u32_e32 v8, s16, v7
	v_cndmask_b32_e32 v7, v7, v8, vcc
	v_cvt_f32_u32_e32 v8, s3
	v_cmp_le_u32_e32 vcc, s16, v7
	v_add_u32_e32 v9, 1, v4
	s_sub_i32 s16, 0, s3
	v_rcp_iflag_f32_e32 v7, v8
	v_cndmask_b32_e32 v4, v4, v9, vcc
	v_xor_b32_e32 v4, v4, v6
	v_sub_u32_e32 v4, v4, v6
	v_mul_f32_e32 v7, 0x4f7ffffe, v7
	v_cvt_u32_f32_e32 v7, v7
	v_sub_u32_e32 v8, 0, v4
	v_ashrrev_i32_e32 v6, 31, v4
	v_max_i32_e32 v4, v4, v8
	v_mul_lo_u32 v8, s16, v7
	v_mul_hi_u32 v8, v7, v8
	v_add_u32_e32 v7, v7, v8
	s_abs_i32 s16, s2
	v_mul_hi_u32 v7, v4, v7
	v_cvt_f32_u32_e32 v8, s16
	v_mul_lo_u32 v7, v7, s3
	v_sub_u32_e32 v4, v4, v7
	v_subrev_u32_e32 v7, s3, v4
	v_cmp_le_u32_e32 vcc, s3, v4
	v_rcp_iflag_f32_e32 v8, v8
	s_ashr_i32 s2, s2, 31
	v_cndmask_b32_e32 v4, v4, v7, vcc
	v_subrev_u32_e32 v7, s3, v4
	v_cmp_le_u32_e32 vcc, s3, v4
	v_xor_b32_e32 v2, s2, v2
	s_sub_i32 s2, 0, s16
	v_cndmask_b32_e32 v4, v4, v7, vcc
	v_xor_b32_e32 v4, v4, v6
	v_sub_u32_e32 v4, v4, v6
	v_mul_f32_e32 v6, 0x4f7ffffe, v8
	v_cvt_u32_f32_e32 v6, v6
	s_waitcnt lgkmcnt(0)
	s_add_i32 s3, s13, s15
	v_mul_lo_u32 v7, s2, v6
	v_mul_hi_u32 v7, v6, v7
	v_add_u32_e32 v6, v6, v7
	v_mul_hi_u32 v6, v5, v6
	v_mul_lo_u32 v7, v6, s16
	v_sub_u32_e32 v5, v5, v7
	v_add_u32_e32 v7, 1, v6
	v_cmp_le_u32_e32 vcc, s16, v5
	s_abs_i32 s2, s15
	s_sub_i32 s11, 0, s2
	v_cndmask_b32_e32 v6, v6, v7, vcc
	v_subrev_u32_e32 v7, s16, v5
	v_cndmask_b32_e32 v5, v5, v7, vcc
	v_add_u32_e32 v7, 1, v6
	v_cmp_le_u32_e32 vcc, s16, v5
	s_nop 1
	v_cndmask_b32_e32 v5, v6, v7, vcc
	v_xor_b32_e32 v5, v5, v2
	v_sub_u32_e32 v5, v5, v2
	v_cvt_f32_u32_e32 v2, s2
	v_xad_u32 v6, v11, -1, s3
	v_sub_u32_e32 v8, 0, v6
	v_max_i32_e32 v8, v6, v8
	v_rcp_iflag_f32_e32 v2, v2
	v_ashrrev_i32_e32 v7, 31, v6
	s_ashr_i32 s3, s15, 31
	v_xor_b32_e32 v7, s3, v7
	v_mul_f32_e32 v2, 0x4f7ffffe, v2
	v_cvt_u32_f32_e32 v2, v2
	v_add_u32_e32 v6, s5, v6
	v_mul_lo_u32 v9, s11, v2
	v_mul_hi_u32 v9, v2, v9
	v_add_u32_e32 v9, v2, v9
	v_mul_hi_u32 v2, v8, v9
	v_mul_lo_u32 v10, v2, s2
	v_sub_u32_e32 v8, v8, v10
	v_add_u32_e32 v10, 1, v2
	v_cmp_le_u32_e32 vcc, s2, v8
	s_nop 1
	v_cndmask_b32_e32 v2, v2, v10, vcc
	v_subrev_u32_e32 v10, s2, v8
	v_cndmask_b32_e32 v8, v8, v10, vcc
	v_add_u32_e32 v10, 1, v2
	v_cmp_le_u32_e32 vcc, s2, v8
	v_sub_u32_e32 v8, 0, v6
	s_nop 0
	v_cndmask_b32_e32 v2, v2, v10, vcc
	v_xor_b32_e32 v2, v2, v7
	v_sub_u32_e32 v2, v2, v7
	v_ashrrev_i32_e32 v7, 31, v6
	v_max_i32_e32 v6, v6, v8
	v_mul_hi_u32 v8, v6, v9
	v_mul_lo_u32 v9, v8, s2
	v_sub_u32_e32 v6, v6, v9
	v_add_u32_e32 v9, 1, v8
	v_cmp_le_u32_e32 vcc, s2, v6
	v_xor_b32_e32 v7, s3, v7
	v_max_i32_e32 v2, 0, v2
	v_cndmask_b32_e32 v8, v8, v9, vcc
	v_subrev_u32_e32 v9, s2, v6
	v_cndmask_b32_e32 v6, v6, v9, vcc
	v_add_u32_e32 v9, 1, v8
	v_cmp_le_u32_e32 vcc, s2, v6
	s_nop 1
	v_cndmask_b32_e32 v6, v8, v9, vcc
	v_xor_b32_e32 v6, v6, v7
	v_sub_u32_e32 v6, v6, v7
	v_min_i32_e32 v7, s9, v6
	v_cmp_ge_i32_e32 vcc, v2, v7
                                        ; implicit-def: $vgpr8
	s_and_saveexec_b64 s[2:3], vcc
	s_xor_b64 s[2:3], exec, s[2:3]
; %bb.2:
	v_mad_u64_u32 v[8:9], s[16:17], v5, s20, v[4:5]
                                        ; implicit-def: $vgpr7
                                        ; implicit-def: $vgpr2
                                        ; implicit-def: $vgpr4
                                        ; implicit-def: $vgpr5
                                        ; implicit-def: $vgpr11
; %bb.3:
	s_or_saveexec_b64 s[22:23], s[2:3]
	s_load_dwordx2 s[2:3], s[0:1], 0x10
	v_sub_u32_e32 v6, v1, v3
	v_mov_b32_e32 v1, 0
	s_xor_b64 exec, exec, s[22:23]
	s_cbranch_execz .LBB0_11
; %bb.4:
	s_abs_i32 s21, s14
	v_cvt_f32_u32_e32 v1, s21
	s_add_i32 s11, s12, s14
	v_mul_lo_u32 v14, v6, s10
	v_xad_u32 v3, v14, -1, s11
	v_rcp_iflag_f32_e32 v1, v1
	s_sub_i32 s10, 0, s21
	v_sub_u32_e32 v8, 0, v3
	v_max_i32_e32 v15, v3, v8
	v_mul_f32_e32 v1, 0x4f7ffffe, v1
	v_cvt_u32_f32_e32 v1, v1
	v_add_u32_e32 v10, s4, v3
	v_sub_u32_e32 v9, 0, v10
	v_max_i32_e32 v16, v10, v9
	v_mul_lo_u32 v8, s10, v1
	v_mul_hi_u32 v8, v1, v8
	v_add_u32_e32 v1, v1, v8
	v_mad_u64_u32 v[8:9], s[10:11], v15, v1, 0
	v_mul_lo_u32 v8, v9, s21
	v_sub_u32_e32 v8, v15, v8
	v_mad_u64_u32 v[12:13], s[10:11], v16, v1, 0
	v_ashrrev_i32_e32 v1, 31, v3
	v_ashrrev_i32_e32 v3, 31, v10
	v_add_u32_e32 v10, 1, v9
	v_cmp_le_u32_e32 vcc, s21, v8
	s_load_dwordx4 s[16:19], s[0:1], 0x0
	s_ashr_i32 s0, s14, 31
	v_cndmask_b32_e32 v9, v9, v10, vcc
	v_subrev_u32_e32 v10, s21, v8
	v_cndmask_b32_e32 v8, v8, v10, vcc
	v_add_u32_e32 v10, 1, v9
	v_cmp_le_u32_e32 vcc, s21, v8
	v_xor_b32_e32 v1, s0, v1
	s_nop 0
	v_cndmask_b32_e32 v8, v9, v10, vcc
	v_xor_b32_e32 v8, v8, v1
	v_sub_u32_e32 v1, v8, v1
	v_max_i32_e32 v10, 0, v1
	v_xor_b32_e32 v1, s0, v3
	v_mul_lo_u32 v3, v13, s21
	v_sub_u32_e32 v3, v16, v3
	v_add_u32_e32 v8, 1, v13
	v_cmp_le_u32_e32 vcc, s21, v3
	v_subrev_u32_e32 v9, s21, v3
	s_nop 0
	v_cndmask_b32_e32 v8, v13, v8, vcc
	v_cndmask_b32_e32 v3, v3, v9, vcc
	v_add_u32_e32 v9, 1, v8
	v_cmp_le_u32_e32 vcc, s21, v3
	s_nop 1
	v_cndmask_b32_e32 v3, v8, v9, vcc
	v_xor_b32_e32 v3, v3, v1
	v_sub_u32_e32 v1, v3, v1
	v_mad_u64_u32 v[8:9], s[0:1], v5, s20, v[4:5]
	v_min_i32_e32 v3, s8, v1
	v_mul_lo_u32 v1, v8, s5
	v_mul_lo_u32 v9, s15, v2
	v_add3_u32 v1, v9, v1, v11
	v_subrev_u32_e32 v1, s13, v1
	v_mul_lo_u32 v5, s14, v10
	v_mul_lo_u32 v1, s4, v1
	v_add3_u32 v1, v5, v1, v14
	v_mad_u64_u32 v[4:5], s[0:1], v4, s9, v[2:3]
	v_cmp_lt_i32_e32 vcc, v10, v3
	v_subrev_u32_e32 v9, s12, v1
	s_mul_i32 s15, s15, s4
	v_mad_u64_u32 v[4:5], s[0:1], s8, v4, v[10:11]
	v_mov_b32_e32 v1, 0
	s_mov_b64 s[4:5], 0
	s_branch .LBB0_6
.LBB0_5:                                ;   in Loop: Header=BB0_6 Depth=1
	s_or_b64 exec, exec, s[10:11]
	v_add_u32_e32 v2, 1, v2
	v_cmp_ge_i32_e64 s[0:1], v2, v7
	v_add_u32_e32 v9, s15, v9
	s_or_b64 s[4:5], s[0:1], s[4:5]
	v_add_u32_e32 v4, s8, v4
	s_andn2_b64 exec, exec, s[4:5]
	s_cbranch_execz .LBB0_10
.LBB0_6:                                ; =>This Loop Header: Depth=1
                                        ;     Child Loop BB0_8 Depth 2
	s_and_saveexec_b64 s[10:11], vcc
	s_cbranch_execz .LBB0_5
; %bb.7:                                ;   in Loop: Header=BB0_6 Depth=1
	v_ashrrev_i32_e32 v5, 31, v4
	s_waitcnt lgkmcnt(0)
	v_lshl_add_u64 v[12:13], v[4:5], 2, s[18:19]
	s_mov_b64 s[12:13], 0
	v_mov_b32_e32 v14, v9
	v_mov_b32_e32 v5, v10
.LBB0_8:                                ;   Parent Loop BB0_6 Depth=1
                                        ; =>  This Inner Loop Header: Depth=2
	v_ashrrev_i32_e32 v15, 31, v14
	v_lshl_add_u64 v[16:17], v[14:15], 2, s[16:17]
	global_load_dword v11, v[12:13], off
	global_load_dword v15, v[16:17], off
	v_add_u32_e32 v5, 1, v5
	v_cmp_ge_i32_e64 s[0:1], v5, v3
	v_lshl_add_u64 v[12:13], v[12:13], 0, 4
	v_add_u32_e32 v14, s14, v14
	s_or_b64 s[12:13], s[0:1], s[12:13]
	s_waitcnt vmcnt(0)
	v_fmac_f32_e32 v1, v15, v11
	s_andn2_b64 exec, exec, s[12:13]
	s_cbranch_execnz .LBB0_8
; %bb.9:                                ;   in Loop: Header=BB0_6 Depth=1
	s_or_b64 exec, exec, s[12:13]
	s_branch .LBB0_5
.LBB0_10:
	s_or_b64 exec, exec, s[4:5]
.LBB0_11:
	s_or_b64 exec, exec, s[22:23]
	v_mad_u64_u32 v[2:3], s[0:1], v8, s7, v[0:1]
	v_mad_u64_u32 v[2:3], s[0:1], v2, s6, v[6:7]
	v_ashrrev_i32_e32 v3, 31, v2
	s_waitcnt lgkmcnt(0)
	v_lshl_add_u64 v[2:3], v[2:3], 2, s[2:3]
	global_store_dword v[2:3], v1, off
.LBB0_12:
	s_endpgm
	.section	.rodata,"a",@progbits
	.p2align	6, 0x0
	.amdhsa_kernel _Z16conv2d_dw_kernelIf11whcn_layoutEvPKT_S3_PS1_iiiiiiiiiiiiii
		.amdhsa_group_segment_fixed_size 0
		.amdhsa_private_segment_fixed_size 0
		.amdhsa_kernarg_size 336
		.amdhsa_user_sgpr_count 2
		.amdhsa_user_sgpr_dispatch_ptr 0
		.amdhsa_user_sgpr_queue_ptr 0
		.amdhsa_user_sgpr_kernarg_segment_ptr 1
		.amdhsa_user_sgpr_dispatch_id 0
		.amdhsa_user_sgpr_kernarg_preload_length 0
		.amdhsa_user_sgpr_kernarg_preload_offset 0
		.amdhsa_user_sgpr_private_segment_size 0
		.amdhsa_uses_dynamic_stack 0
		.amdhsa_enable_private_segment 0
		.amdhsa_system_sgpr_workgroup_id_x 1
		.amdhsa_system_sgpr_workgroup_id_y 0
		.amdhsa_system_sgpr_workgroup_id_z 0
		.amdhsa_system_sgpr_workgroup_info 0
		.amdhsa_system_vgpr_workitem_id 0
		.amdhsa_next_free_vgpr 18
		.amdhsa_next_free_sgpr 24
		.amdhsa_accum_offset 20
		.amdhsa_reserve_vcc 1
		.amdhsa_float_round_mode_32 0
		.amdhsa_float_round_mode_16_64 0
		.amdhsa_float_denorm_mode_32 3
		.amdhsa_float_denorm_mode_16_64 3
		.amdhsa_dx10_clamp 1
		.amdhsa_ieee_mode 1
		.amdhsa_fp16_overflow 0
		.amdhsa_tg_split 0
		.amdhsa_exception_fp_ieee_invalid_op 0
		.amdhsa_exception_fp_denorm_src 0
		.amdhsa_exception_fp_ieee_div_zero 0
		.amdhsa_exception_fp_ieee_overflow 0
		.amdhsa_exception_fp_ieee_underflow 0
		.amdhsa_exception_fp_ieee_inexact 0
		.amdhsa_exception_int_div_zero 0
	.end_amdhsa_kernel
	.section	.text._Z16conv2d_dw_kernelIf11whcn_layoutEvPKT_S3_PS1_iiiiiiiiiiiiii,"axG",@progbits,_Z16conv2d_dw_kernelIf11whcn_layoutEvPKT_S3_PS1_iiiiiiiiiiiiii,comdat
.Lfunc_end0:
	.size	_Z16conv2d_dw_kernelIf11whcn_layoutEvPKT_S3_PS1_iiiiiiiiiiiiii, .Lfunc_end0-_Z16conv2d_dw_kernelIf11whcn_layoutEvPKT_S3_PS1_iiiiiiiiiiiiii
                                        ; -- End function
	.set _Z16conv2d_dw_kernelIf11whcn_layoutEvPKT_S3_PS1_iiiiiiiiiiiiii.num_vgpr, 18
	.set _Z16conv2d_dw_kernelIf11whcn_layoutEvPKT_S3_PS1_iiiiiiiiiiiiii.num_agpr, 0
	.set _Z16conv2d_dw_kernelIf11whcn_layoutEvPKT_S3_PS1_iiiiiiiiiiiiii.numbered_sgpr, 24
	.set _Z16conv2d_dw_kernelIf11whcn_layoutEvPKT_S3_PS1_iiiiiiiiiiiiii.num_named_barrier, 0
	.set _Z16conv2d_dw_kernelIf11whcn_layoutEvPKT_S3_PS1_iiiiiiiiiiiiii.private_seg_size, 0
	.set _Z16conv2d_dw_kernelIf11whcn_layoutEvPKT_S3_PS1_iiiiiiiiiiiiii.uses_vcc, 1
	.set _Z16conv2d_dw_kernelIf11whcn_layoutEvPKT_S3_PS1_iiiiiiiiiiiiii.uses_flat_scratch, 0
	.set _Z16conv2d_dw_kernelIf11whcn_layoutEvPKT_S3_PS1_iiiiiiiiiiiiii.has_dyn_sized_stack, 0
	.set _Z16conv2d_dw_kernelIf11whcn_layoutEvPKT_S3_PS1_iiiiiiiiiiiiii.has_recursion, 0
	.set _Z16conv2d_dw_kernelIf11whcn_layoutEvPKT_S3_PS1_iiiiiiiiiiiiii.has_indirect_call, 0
	.section	.AMDGPU.csdata,"",@progbits
; Kernel info:
; codeLenInByte = 1548
; TotalNumSgprs: 30
; NumVgprs: 18
; NumAgprs: 0
; TotalNumVgprs: 18
; ScratchSize: 0
; MemoryBound: 0
; FloatMode: 240
; IeeeMode: 1
; LDSByteSize: 0 bytes/workgroup (compile time only)
; SGPRBlocks: 3
; VGPRBlocks: 2
; NumSGPRsForWavesPerEU: 30
; NumVGPRsForWavesPerEU: 18
; AccumOffset: 20
; Occupancy: 8
; WaveLimiterHint : 0
; COMPUTE_PGM_RSRC2:SCRATCH_EN: 0
; COMPUTE_PGM_RSRC2:USER_SGPR: 2
; COMPUTE_PGM_RSRC2:TRAP_HANDLER: 0
; COMPUTE_PGM_RSRC2:TGID_X_EN: 1
; COMPUTE_PGM_RSRC2:TGID_Y_EN: 0
; COMPUTE_PGM_RSRC2:TGID_Z_EN: 0
; COMPUTE_PGM_RSRC2:TIDIG_COMP_CNT: 0
; COMPUTE_PGM_RSRC3_GFX90A:ACCUM_OFFSET: 4
; COMPUTE_PGM_RSRC3_GFX90A:TG_SPLIT: 0
	.section	.text._Z16conv2d_dw_kernelIf11cwhn_layoutEvPKT_S3_PS1_iiiiiiiiiiiiii,"axG",@progbits,_Z16conv2d_dw_kernelIf11cwhn_layoutEvPKT_S3_PS1_iiiiiiiiiiiiii,comdat
	.protected	_Z16conv2d_dw_kernelIf11cwhn_layoutEvPKT_S3_PS1_iiiiiiiiiiiiii ; -- Begin function _Z16conv2d_dw_kernelIf11cwhn_layoutEvPKT_S3_PS1_iiiiiiiiiiiiii
	.globl	_Z16conv2d_dw_kernelIf11cwhn_layoutEvPKT_S3_PS1_iiiiiiiiiiiiii
	.p2align	8
	.type	_Z16conv2d_dw_kernelIf11cwhn_layoutEvPKT_S3_PS1_iiiiiiiiiiiiii,@function
_Z16conv2d_dw_kernelIf11cwhn_layoutEvPKT_S3_PS1_iiiiiiiiiiiiii: ; @_Z16conv2d_dw_kernelIf11cwhn_layoutEvPKT_S3_PS1_iiiiiiiiiiiiii
; %bb.0:
	s_load_dword s3, s[0:1], 0x5c
	s_load_dwordx2 s[20:21], s[0:1], 0x48
	s_load_dwordx8 s[4:11], s[0:1], 0x18
	s_waitcnt lgkmcnt(0)
	s_and_b32 s3, s3, 0xffff
	s_mul_i32 s2, s2, s3
	s_mul_i32 s17, s20, s6
	s_mul_i32 s16, s17, s7
	v_add_u32_e32 v0, s2, v0
	s_mul_i32 s2, s16, s21
	v_cmp_gt_i32_e32 vcc, s2, v0
	s_and_saveexec_b64 s[2:3], vcc
	s_cbranch_execz .LBB1_10
; %bb.1:
	s_abs_i32 s18, s20
	v_cvt_f32_u32_e32 v1, s18
	v_ashrrev_i32_e32 v5, 31, v0
	s_ashr_i32 s19, s20, 31
	v_sub_u32_e32 v2, 0, v0
	v_rcp_iflag_f32_e32 v1, v1
	v_xor_b32_e32 v4, s19, v5
	s_sub_i32 s19, 0, s18
	v_max_i32_e32 v7, v0, v2
	v_mul_f32_e32 v1, 0x4f7ffffe, v1
	v_cvt_u32_f32_e32 v1, v1
	s_load_dwordx2 s[2:3], s[0:1], 0x10
	s_load_dwordx4 s[12:15], s[0:1], 0x38
	v_mul_lo_u32 v2, s19, v1
	v_mul_hi_u32 v2, v1, v2
	v_add_u32_e32 v1, v1, v2
	v_mul_hi_u32 v1, v7, v1
	v_mul_lo_u32 v2, v1, s18
	v_sub_u32_e32 v2, v7, v2
	v_add_u32_e32 v3, 1, v1
	v_cmp_le_u32_e32 vcc, s18, v2
	s_abs_i32 s19, s6
	s_nop 0
	v_cndmask_b32_e32 v1, v1, v3, vcc
	v_subrev_u32_e32 v3, s18, v2
	v_cndmask_b32_e32 v2, v2, v3, vcc
	v_cvt_f32_u32_e32 v3, s19
	v_cmp_le_u32_e32 vcc, s18, v2
	v_add_u32_e32 v6, 1, v1
	s_sub_i32 s18, 0, s19
	v_rcp_iflag_f32_e32 v2, v3
	v_cndmask_b32_e32 v1, v1, v6, vcc
	v_xor_b32_e32 v3, v1, v4
	v_sub_u32_e32 v1, v3, v4
	v_mul_f32_e32 v2, 0x4f7ffffe, v2
	v_cvt_u32_f32_e32 v2, v2
	v_sub_u32_e32 v8, 0, v1
	v_max_i32_e32 v8, v1, v8
	v_ashrrev_i32_e32 v6, 31, v1
	v_mul_lo_u32 v9, s18, v2
	v_mul_hi_u32 v9, v2, v9
	v_add_u32_e32 v2, v2, v9
	s_abs_i32 s18, s17
	v_mul_hi_u32 v2, v8, v2
	v_cvt_f32_u32_e32 v9, s18
	v_mul_lo_u32 v2, v2, s19
	v_sub_u32_e32 v2, v8, v2
	v_subrev_u32_e32 v8, s19, v2
	v_cmp_le_u32_e32 vcc, s19, v2
	v_rcp_iflag_f32_e32 v9, v9
	s_ashr_i32 s17, s17, 31
	v_cndmask_b32_e32 v2, v2, v8, vcc
	v_subrev_u32_e32 v8, s19, v2
	v_cmp_le_u32_e32 vcc, s19, v2
	s_nop 1
	v_cndmask_b32_e32 v2, v2, v8, vcc
	v_xor_b32_e32 v2, v2, v6
	v_sub_u32_e32 v2, v2, v6
	v_mul_f32_e32 v6, 0x4f7ffffe, v9
	v_cvt_u32_f32_e32 v6, v6
	v_xor_b32_e32 v8, s17, v5
	s_sub_i32 s17, 0, s18
	v_mul_lo_u32 v9, s17, v6
	v_mul_hi_u32 v9, v6, v9
	v_add_u32_e32 v6, v6, v9
	v_mul_hi_u32 v6, v7, v6
	v_mul_lo_u32 v9, v6, s18
	v_sub_u32_e32 v9, v7, v9
	v_add_u32_e32 v10, 1, v6
	v_cmp_le_u32_e32 vcc, s18, v9
	s_abs_i32 s17, s7
	s_nop 0
	v_cndmask_b32_e32 v6, v6, v10, vcc
	v_subrev_u32_e32 v10, s18, v9
	v_cndmask_b32_e32 v9, v9, v10, vcc
	v_cvt_f32_u32_e32 v10, s17
	v_cmp_le_u32_e32 vcc, s18, v9
	v_add_u32_e32 v11, 1, v6
	s_sub_i32 s18, 0, s17
	v_rcp_iflag_f32_e32 v9, v10
	v_cndmask_b32_e32 v6, v6, v11, vcc
	v_xor_b32_e32 v6, v6, v8
	v_sub_u32_e32 v6, v6, v8
	v_mul_f32_e32 v9, 0x4f7ffffe, v9
	v_cvt_u32_f32_e32 v9, v9
	v_sub_u32_e32 v10, 0, v6
	v_ashrrev_i32_e32 v8, 31, v6
	v_max_i32_e32 v6, v6, v10
	v_mul_lo_u32 v10, s18, v9
	v_mul_hi_u32 v10, v9, v10
	v_add_u32_e32 v9, v9, v10
	s_abs_i32 s18, s16
	v_mul_hi_u32 v9, v6, v9
	v_cvt_f32_u32_e32 v10, s18
	v_mul_lo_u32 v9, v9, s17
	v_sub_u32_e32 v6, v6, v9
	v_subrev_u32_e32 v9, s17, v6
	v_cmp_le_u32_e32 vcc, s17, v6
	v_rcp_iflag_f32_e32 v10, v10
	s_ashr_i32 s16, s16, 31
	v_cndmask_b32_e32 v6, v6, v9, vcc
	v_subrev_u32_e32 v9, s17, v6
	v_cmp_le_u32_e32 vcc, s17, v6
	v_xor_b32_e32 v5, s16, v5
	s_sub_i32 s16, 0, s18
	v_cndmask_b32_e32 v6, v6, v9, vcc
	v_xor_b32_e32 v6, v6, v8
	v_sub_u32_e32 v6, v6, v8
	v_mul_f32_e32 v8, 0x4f7ffffe, v10
	v_cvt_u32_f32_e32 v8, v8
	v_mul_lo_u32 v9, s16, v8
	v_mul_hi_u32 v9, v8, v9
	v_add_u32_e32 v8, v8, v9
	v_mul_hi_u32 v8, v7, v8
	v_mul_lo_u32 v9, v8, s18
	v_sub_u32_e32 v7, v7, v9
	v_add_u32_e32 v9, 1, v8
	v_cmp_le_u32_e32 vcc, s18, v7
	s_waitcnt lgkmcnt(0)
	s_abs_i32 s16, s15
	s_sub_i32 s17, 0, s16
	v_cndmask_b32_e32 v8, v8, v9, vcc
	v_subrev_u32_e32 v9, s18, v7
	v_cndmask_b32_e32 v7, v7, v9, vcc
	v_add_u32_e32 v9, 1, v8
	v_cmp_le_u32_e32 vcc, s18, v7
	s_nop 1
	v_cndmask_b32_e32 v7, v8, v9, vcc
	v_cvt_f32_u32_e32 v8, s16
	v_xor_b32_e32 v7, v7, v5
	v_sub_u32_e32 v7, v7, v5
	v_mul_lo_u32 v5, v6, s11
	v_rcp_iflag_f32_e32 v8, v8
	s_add_i32 s11, s13, s15
	v_xad_u32 v9, v5, -1, s11
	v_sub_u32_e32 v11, 0, v9
	v_mul_f32_e32 v8, 0x4f7ffffe, v8
	v_cvt_u32_f32_e32 v8, v8
	v_max_i32_e32 v11, v9, v11
	v_ashrrev_i32_e32 v10, 31, v9
	s_ashr_i32 s11, s15, 31
	v_mul_lo_u32 v12, s17, v8
	v_mul_hi_u32 v12, v8, v12
	v_add_u32_e32 v8, v8, v12
	v_mul_hi_u32 v12, v11, v8
	v_mul_lo_u32 v13, v12, s16
	v_sub_u32_e32 v11, v11, v13
	v_add_u32_e32 v13, 1, v12
	v_cmp_le_u32_e32 vcc, s16, v11
	v_xor_b32_e32 v10, s11, v10
	v_add_u32_e32 v9, s5, v9
	v_cndmask_b32_e32 v12, v12, v13, vcc
	v_subrev_u32_e32 v13, s16, v11
	v_cndmask_b32_e32 v11, v11, v13, vcc
	v_add_u32_e32 v13, 1, v12
	v_cmp_le_u32_e32 vcc, s16, v11
	s_nop 1
	v_cndmask_b32_e32 v11, v12, v13, vcc
	v_xor_b32_e32 v11, v11, v10
	v_sub_u32_e32 v10, v11, v10
	v_sub_u32_e32 v11, 0, v9
	v_max_i32_e32 v14, 0, v10
	v_ashrrev_i32_e32 v10, 31, v9
	v_max_i32_e32 v9, v9, v11
	v_mul_hi_u32 v8, v9, v8
	v_mul_lo_u32 v11, v8, s16
	v_sub_u32_e32 v9, v9, v11
	v_add_u32_e32 v11, 1, v8
	v_cmp_le_u32_e32 vcc, s16, v9
	v_xor_b32_e32 v10, s11, v10
	s_nop 0
	v_cndmask_b32_e32 v8, v8, v11, vcc
	v_subrev_u32_e32 v11, s16, v9
	v_cndmask_b32_e32 v9, v9, v11, vcc
	v_add_u32_e32 v11, 1, v8
	v_cmp_le_u32_e32 vcc, s16, v9
	v_mov_b32_e32 v9, 0
	s_nop 0
	v_cndmask_b32_e32 v8, v8, v11, vcc
	v_xor_b32_e32 v8, v8, v10
	v_sub_u32_e32 v8, v8, v10
	v_min_i32_e32 v15, s9, v8
	v_cmp_lt_i32_e32 vcc, v14, v15
	s_and_saveexec_b64 s[22:23], vcc
	s_cbranch_execz .LBB1_9
; %bb.2:
	s_abs_i32 s9, s14
	v_cvt_f32_u32_e32 v8, s9
	s_load_dwordx4 s[16:19], s[0:1], 0x0
	v_mul_lo_u32 v12, v2, s10
	s_add_i32 s0, s12, s14
	v_rcp_iflag_f32_e32 v8, v8
	v_xad_u32 v10, v12, -1, s0
	s_sub_i32 s0, 0, s9
	v_sub_u32_e32 v9, 0, v10
	v_mul_f32_e32 v8, 0x4f7ffffe, v8
	v_cvt_u32_f32_e32 v8, v8
	v_max_i32_e32 v16, v10, v9
	v_ashrrev_i32_e32 v13, 31, v10
	s_ashr_i32 s10, s14, 31
	v_mul_lo_u32 v9, s0, v8
	v_mul_hi_u32 v9, v8, v9
	v_add_u32_e32 v11, v8, v9
	v_mad_u64_u32 v[8:9], s[0:1], v16, v11, 0
	v_add_u32_e32 v8, s4, v10
	v_sub_u32_e32 v10, 0, v8
	v_ashrrev_i32_e32 v17, 31, v8
	v_max_i32_e32 v8, v8, v10
	v_mad_u64_u32 v[10:11], s[0:1], v8, v11, 0
	v_xor_b32_e32 v10, s10, v13
	v_mul_lo_u32 v13, v9, s9
	v_sub_u32_e32 v13, v16, v13
	v_add_u32_e32 v16, 1, v9
	v_cmp_le_u32_e32 vcc, s9, v13
	s_nop 1
	v_cndmask_b32_e32 v9, v9, v16, vcc
	v_subrev_u32_e32 v16, s9, v13
	v_cndmask_b32_e32 v13, v13, v16, vcc
	v_add_u32_e32 v16, 1, v9
	v_cmp_le_u32_e32 vcc, s9, v13
	s_nop 1
	v_cndmask_b32_e32 v9, v9, v16, vcc
	v_xor_b32_e32 v9, v9, v10
	v_sub_u32_e32 v9, v9, v10
	v_mul_lo_u32 v10, v11, s9
	v_sub_u32_e32 v8, v8, v10
	v_add_u32_e32 v10, 1, v11
	v_cmp_le_u32_e32 vcc, s9, v8
	v_max_i32_e32 v16, 0, v9
	v_xor_b32_e32 v9, s10, v17
	v_cndmask_b32_e32 v10, v11, v10, vcc
	v_subrev_u32_e32 v11, s9, v8
	v_cndmask_b32_e32 v8, v8, v11, vcc
	v_add_u32_e32 v11, 1, v10
	v_cmp_le_u32_e32 vcc, s9, v8
	s_nop 1
	v_cndmask_b32_e32 v8, v10, v11, vcc
	v_xor_b32_e32 v8, v8, v9
	v_sub_u32_e32 v8, v8, v9
	v_min_i32_e32 v17, s8, v8
	v_mad_u64_u32 v[8:9], s[0:1], s14, v16, v[4:5]
	v_mul_lo_u32 v10, v7, s5
	v_mul_lo_u32 v9, s15, v14
	v_add3_u32 v5, v9, v5, v10
	v_subrev_u32_e32 v5, s13, v5
	v_mul_lo_u32 v5, s4, v5
	v_add3_u32 v5, v8, v5, v12
	v_sub_u32_e32 v5, v5, v3
	v_subrev_u32_e32 v5, s12, v5
	v_mad_u64_u32 v[8:9], s[0:1], s20, v5, v[0:1]
	v_mul_lo_u32 v5, s8, v14
	v_add3_u32 v4, v4, v16, v5
	s_mul_i32 s12, s20, s15
	v_sub_u32_e32 v3, v4, v3
	v_cmp_lt_i32_e32 vcc, v16, v17
	s_mul_i32 s12, s12, s4
	s_mul_i32 s13, s20, s14
	v_mad_u64_u32 v[4:5], s[0:1], s20, v3, v[0:1]
	s_mul_i32 s14, s20, s8
	v_mov_b32_e32 v9, 0
	s_mov_b64 s[4:5], 0
	s_branch .LBB1_4
.LBB1_3:                                ;   in Loop: Header=BB1_4 Depth=1
	s_or_b64 exec, exec, s[8:9]
	v_add_u32_e32 v14, 1, v14
	v_cmp_ge_i32_e64 s[0:1], v14, v15
	v_add_u32_e32 v8, s12, v8
	s_or_b64 s[4:5], s[0:1], s[4:5]
	v_add_u32_e32 v4, s14, v4
	s_andn2_b64 exec, exec, s[4:5]
	s_cbranch_execz .LBB1_8
.LBB1_4:                                ; =>This Loop Header: Depth=1
                                        ;     Child Loop BB1_6 Depth 2
	s_and_saveexec_b64 s[8:9], vcc
	s_cbranch_execz .LBB1_3
; %bb.5:                                ;   in Loop: Header=BB1_4 Depth=1
	s_mov_b64 s[10:11], 0
	v_mov_b32_e32 v10, v4
	v_mov_b32_e32 v12, v8
	;; [unrolled: 1-line block ×3, first 2 shown]
.LBB1_6:                                ;   Parent Loop BB1_4 Depth=1
                                        ; =>  This Inner Loop Header: Depth=2
	v_ashrrev_i32_e32 v13, 31, v12
	s_waitcnt lgkmcnt(0)
	v_lshl_add_u64 v[18:19], v[12:13], 2, s[16:17]
	v_ashrrev_i32_e32 v11, 31, v10
	global_load_dword v5, v[18:19], off
	v_lshl_add_u64 v[18:19], v[10:11], 2, s[18:19]
	global_load_dword v11, v[18:19], off
	v_add_u32_e32 v3, 1, v3
	v_cmp_ge_i32_e64 s[0:1], v3, v17
	v_add_u32_e32 v12, s13, v12
	s_or_b64 s[10:11], s[0:1], s[10:11]
	v_add_u32_e32 v10, s20, v10
	s_waitcnt vmcnt(0)
	v_fmac_f32_e32 v9, v5, v11
	s_andn2_b64 exec, exec, s[10:11]
	s_cbranch_execnz .LBB1_6
; %bb.7:                                ;   in Loop: Header=BB1_4 Depth=1
	s_or_b64 exec, exec, s[10:11]
	s_branch .LBB1_3
.LBB1_8:
	s_or_b64 exec, exec, s[4:5]
.LBB1_9:
	s_or_b64 exec, exec, s[22:23]
	v_mul_lo_u32 v1, v1, s20
	v_mad_u64_u32 v[4:5], s[0:1], v7, s7, v[6:7]
	v_sub_u32_e32 v0, v0, v1
	v_mad_u64_u32 v[2:3], s[0:1], v4, s6, v[2:3]
	v_mad_u64_u32 v[0:1], s[0:1], v2, s20, v[0:1]
	v_ashrrev_i32_e32 v1, 31, v0
	v_lshl_add_u64 v[0:1], v[0:1], 2, s[2:3]
	global_store_dword v[0:1], v9, off
.LBB1_10:
	s_endpgm
	.section	.rodata,"a",@progbits
	.p2align	6, 0x0
	.amdhsa_kernel _Z16conv2d_dw_kernelIf11cwhn_layoutEvPKT_S3_PS1_iiiiiiiiiiiiii
		.amdhsa_group_segment_fixed_size 0
		.amdhsa_private_segment_fixed_size 0
		.amdhsa_kernarg_size 336
		.amdhsa_user_sgpr_count 2
		.amdhsa_user_sgpr_dispatch_ptr 0
		.amdhsa_user_sgpr_queue_ptr 0
		.amdhsa_user_sgpr_kernarg_segment_ptr 1
		.amdhsa_user_sgpr_dispatch_id 0
		.amdhsa_user_sgpr_kernarg_preload_length 0
		.amdhsa_user_sgpr_kernarg_preload_offset 0
		.amdhsa_user_sgpr_private_segment_size 0
		.amdhsa_uses_dynamic_stack 0
		.amdhsa_enable_private_segment 0
		.amdhsa_system_sgpr_workgroup_id_x 1
		.amdhsa_system_sgpr_workgroup_id_y 0
		.amdhsa_system_sgpr_workgroup_id_z 0
		.amdhsa_system_sgpr_workgroup_info 0
		.amdhsa_system_vgpr_workitem_id 0
		.amdhsa_next_free_vgpr 20
		.amdhsa_next_free_sgpr 24
		.amdhsa_accum_offset 20
		.amdhsa_reserve_vcc 1
		.amdhsa_float_round_mode_32 0
		.amdhsa_float_round_mode_16_64 0
		.amdhsa_float_denorm_mode_32 3
		.amdhsa_float_denorm_mode_16_64 3
		.amdhsa_dx10_clamp 1
		.amdhsa_ieee_mode 1
		.amdhsa_fp16_overflow 0
		.amdhsa_tg_split 0
		.amdhsa_exception_fp_ieee_invalid_op 0
		.amdhsa_exception_fp_denorm_src 0
		.amdhsa_exception_fp_ieee_div_zero 0
		.amdhsa_exception_fp_ieee_overflow 0
		.amdhsa_exception_fp_ieee_underflow 0
		.amdhsa_exception_fp_ieee_inexact 0
		.amdhsa_exception_int_div_zero 0
	.end_amdhsa_kernel
	.section	.text._Z16conv2d_dw_kernelIf11cwhn_layoutEvPKT_S3_PS1_iiiiiiiiiiiiii,"axG",@progbits,_Z16conv2d_dw_kernelIf11cwhn_layoutEvPKT_S3_PS1_iiiiiiiiiiiiii,comdat
.Lfunc_end1:
	.size	_Z16conv2d_dw_kernelIf11cwhn_layoutEvPKT_S3_PS1_iiiiiiiiiiiiii, .Lfunc_end1-_Z16conv2d_dw_kernelIf11cwhn_layoutEvPKT_S3_PS1_iiiiiiiiiiiiii
                                        ; -- End function
	.set _Z16conv2d_dw_kernelIf11cwhn_layoutEvPKT_S3_PS1_iiiiiiiiiiiiii.num_vgpr, 20
	.set _Z16conv2d_dw_kernelIf11cwhn_layoutEvPKT_S3_PS1_iiiiiiiiiiiiii.num_agpr, 0
	.set _Z16conv2d_dw_kernelIf11cwhn_layoutEvPKT_S3_PS1_iiiiiiiiiiiiii.numbered_sgpr, 24
	.set _Z16conv2d_dw_kernelIf11cwhn_layoutEvPKT_S3_PS1_iiiiiiiiiiiiii.num_named_barrier, 0
	.set _Z16conv2d_dw_kernelIf11cwhn_layoutEvPKT_S3_PS1_iiiiiiiiiiiiii.private_seg_size, 0
	.set _Z16conv2d_dw_kernelIf11cwhn_layoutEvPKT_S3_PS1_iiiiiiiiiiiiii.uses_vcc, 1
	.set _Z16conv2d_dw_kernelIf11cwhn_layoutEvPKT_S3_PS1_iiiiiiiiiiiiii.uses_flat_scratch, 0
	.set _Z16conv2d_dw_kernelIf11cwhn_layoutEvPKT_S3_PS1_iiiiiiiiiiiiii.has_dyn_sized_stack, 0
	.set _Z16conv2d_dw_kernelIf11cwhn_layoutEvPKT_S3_PS1_iiiiiiiiiiiiii.has_recursion, 0
	.set _Z16conv2d_dw_kernelIf11cwhn_layoutEvPKT_S3_PS1_iiiiiiiiiiiiii.has_indirect_call, 0
	.section	.AMDGPU.csdata,"",@progbits
; Kernel info:
; codeLenInByte = 1556
; TotalNumSgprs: 30
; NumVgprs: 20
; NumAgprs: 0
; TotalNumVgprs: 20
; ScratchSize: 0
; MemoryBound: 0
; FloatMode: 240
; IeeeMode: 1
; LDSByteSize: 0 bytes/workgroup (compile time only)
; SGPRBlocks: 3
; VGPRBlocks: 2
; NumSGPRsForWavesPerEU: 30
; NumVGPRsForWavesPerEU: 20
; AccumOffset: 20
; Occupancy: 8
; WaveLimiterHint : 0
; COMPUTE_PGM_RSRC2:SCRATCH_EN: 0
; COMPUTE_PGM_RSRC2:USER_SGPR: 2
; COMPUTE_PGM_RSRC2:TRAP_HANDLER: 0
; COMPUTE_PGM_RSRC2:TGID_X_EN: 1
; COMPUTE_PGM_RSRC2:TGID_Y_EN: 0
; COMPUTE_PGM_RSRC2:TGID_Z_EN: 0
; COMPUTE_PGM_RSRC2:TIDIG_COMP_CNT: 0
; COMPUTE_PGM_RSRC3_GFX90A:ACCUM_OFFSET: 4
; COMPUTE_PGM_RSRC3_GFX90A:TG_SPLIT: 0
	.section	.AMDGPU.gpr_maximums,"",@progbits
	.set amdgpu.max_num_vgpr, 0
	.set amdgpu.max_num_agpr, 0
	.set amdgpu.max_num_sgpr, 0
	.section	.AMDGPU.csdata,"",@progbits
	.type	__hip_cuid_7eb1419c95c376da,@object ; @__hip_cuid_7eb1419c95c376da
	.section	.bss,"aw",@nobits
	.globl	__hip_cuid_7eb1419c95c376da
__hip_cuid_7eb1419c95c376da:
	.byte	0                               ; 0x0
	.size	__hip_cuid_7eb1419c95c376da, 1

	.ident	"AMD clang version 22.0.0git (https://github.com/RadeonOpenCompute/llvm-project roc-7.2.4 26084 f58b06dce1f9c15707c5f808fd002e18c2accf7e)"
	.section	".note.GNU-stack","",@progbits
	.addrsig
	.addrsig_sym __hip_cuid_7eb1419c95c376da
	.amdgpu_metadata
---
amdhsa.kernels:
  - .agpr_count:     0
    .args:
      - .actual_access:  read_only
        .address_space:  global
        .offset:         0
        .size:           8
        .value_kind:     global_buffer
      - .actual_access:  read_only
        .address_space:  global
        .offset:         8
        .size:           8
        .value_kind:     global_buffer
      - .actual_access:  write_only
        .address_space:  global
        .offset:         16
        .size:           8
        .value_kind:     global_buffer
      - .offset:         24
        .size:           4
        .value_kind:     by_value
      - .offset:         28
        .size:           4
        .value_kind:     by_value
      - .offset:         32
        .size:           4
        .value_kind:     by_value
      - .offset:         36
        .size:           4
        .value_kind:     by_value
      - .offset:         40
        .size:           4
        .value_kind:     by_value
      - .offset:         44
        .size:           4
        .value_kind:     by_value
      - .offset:         48
        .size:           4
        .value_kind:     by_value
      - .offset:         52
        .size:           4
        .value_kind:     by_value
      - .offset:         56
        .size:           4
        .value_kind:     by_value
      - .offset:         60
        .size:           4
        .value_kind:     by_value
      - .offset:         64
        .size:           4
        .value_kind:     by_value
      - .offset:         68
        .size:           4
        .value_kind:     by_value
      - .offset:         72
        .size:           4
        .value_kind:     by_value
      - .offset:         76
        .size:           4
        .value_kind:     by_value
      - .offset:         80
        .size:           4
        .value_kind:     hidden_block_count_x
      - .offset:         84
        .size:           4
        .value_kind:     hidden_block_count_y
      - .offset:         88
        .size:           4
        .value_kind:     hidden_block_count_z
      - .offset:         92
        .size:           2
        .value_kind:     hidden_group_size_x
      - .offset:         94
        .size:           2
        .value_kind:     hidden_group_size_y
      - .offset:         96
        .size:           2
        .value_kind:     hidden_group_size_z
      - .offset:         98
        .size:           2
        .value_kind:     hidden_remainder_x
      - .offset:         100
        .size:           2
        .value_kind:     hidden_remainder_y
      - .offset:         102
        .size:           2
        .value_kind:     hidden_remainder_z
      - .offset:         120
        .size:           8
        .value_kind:     hidden_global_offset_x
      - .offset:         128
        .size:           8
        .value_kind:     hidden_global_offset_y
      - .offset:         136
        .size:           8
        .value_kind:     hidden_global_offset_z
      - .offset:         144
        .size:           2
        .value_kind:     hidden_grid_dims
    .group_segment_fixed_size: 0
    .kernarg_segment_align: 8
    .kernarg_segment_size: 336
    .language:       OpenCL C
    .language_version:
      - 2
      - 0
    .max_flat_workgroup_size: 1024
    .name:           _Z16conv2d_dw_kernelIf11whcn_layoutEvPKT_S3_PS1_iiiiiiiiiiiiii
    .private_segment_fixed_size: 0
    .sgpr_count:     30
    .sgpr_spill_count: 0
    .symbol:         _Z16conv2d_dw_kernelIf11whcn_layoutEvPKT_S3_PS1_iiiiiiiiiiiiii.kd
    .uniform_work_group_size: 1
    .uses_dynamic_stack: false
    .vgpr_count:     18
    .vgpr_spill_count: 0
    .wavefront_size: 64
  - .agpr_count:     0
    .args:
      - .actual_access:  read_only
        .address_space:  global
        .offset:         0
        .size:           8
        .value_kind:     global_buffer
      - .actual_access:  read_only
        .address_space:  global
        .offset:         8
        .size:           8
        .value_kind:     global_buffer
      - .actual_access:  write_only
        .address_space:  global
        .offset:         16
        .size:           8
        .value_kind:     global_buffer
      - .offset:         24
        .size:           4
        .value_kind:     by_value
      - .offset:         28
        .size:           4
        .value_kind:     by_value
      - .offset:         32
        .size:           4
        .value_kind:     by_value
      - .offset:         36
        .size:           4
        .value_kind:     by_value
      - .offset:         40
        .size:           4
        .value_kind:     by_value
      - .offset:         44
        .size:           4
        .value_kind:     by_value
      - .offset:         48
        .size:           4
        .value_kind:     by_value
      - .offset:         52
        .size:           4
        .value_kind:     by_value
      - .offset:         56
        .size:           4
        .value_kind:     by_value
      - .offset:         60
        .size:           4
        .value_kind:     by_value
      - .offset:         64
        .size:           4
        .value_kind:     by_value
      - .offset:         68
        .size:           4
        .value_kind:     by_value
      - .offset:         72
        .size:           4
        .value_kind:     by_value
      - .offset:         76
        .size:           4
        .value_kind:     by_value
      - .offset:         80
        .size:           4
        .value_kind:     hidden_block_count_x
      - .offset:         84
        .size:           4
        .value_kind:     hidden_block_count_y
      - .offset:         88
        .size:           4
        .value_kind:     hidden_block_count_z
      - .offset:         92
        .size:           2
        .value_kind:     hidden_group_size_x
      - .offset:         94
        .size:           2
        .value_kind:     hidden_group_size_y
      - .offset:         96
        .size:           2
        .value_kind:     hidden_group_size_z
      - .offset:         98
        .size:           2
        .value_kind:     hidden_remainder_x
      - .offset:         100
        .size:           2
        .value_kind:     hidden_remainder_y
      - .offset:         102
        .size:           2
        .value_kind:     hidden_remainder_z
      - .offset:         120
        .size:           8
        .value_kind:     hidden_global_offset_x
      - .offset:         128
        .size:           8
        .value_kind:     hidden_global_offset_y
      - .offset:         136
        .size:           8
        .value_kind:     hidden_global_offset_z
      - .offset:         144
        .size:           2
        .value_kind:     hidden_grid_dims
    .group_segment_fixed_size: 0
    .kernarg_segment_align: 8
    .kernarg_segment_size: 336
    .language:       OpenCL C
    .language_version:
      - 2
      - 0
    .max_flat_workgroup_size: 1024
    .name:           _Z16conv2d_dw_kernelIf11cwhn_layoutEvPKT_S3_PS1_iiiiiiiiiiiiii
    .private_segment_fixed_size: 0
    .sgpr_count:     30
    .sgpr_spill_count: 0
    .symbol:         _Z16conv2d_dw_kernelIf11cwhn_layoutEvPKT_S3_PS1_iiiiiiiiiiiiii.kd
    .uniform_work_group_size: 1
    .uses_dynamic_stack: false
    .vgpr_count:     20
    .vgpr_spill_count: 0
    .wavefront_size: 64
amdhsa.target:   amdgcn-amd-amdhsa--gfx950
amdhsa.version:
  - 1
  - 2
...

	.end_amdgpu_metadata
